;; amdgpu-corpus repo=ROCm/rocFFT kind=compiled arch=gfx950 opt=O3
	.text
	.amdgcn_target "amdgcn-amd-amdhsa--gfx950"
	.amdhsa_code_object_version 6
	.protected	fft_rtc_fwd_len360_factors_10_6_6_wgs_240_tpt_60_halfLds_sp_op_CI_CI_unitstride_sbrr_dirReg ; -- Begin function fft_rtc_fwd_len360_factors_10_6_6_wgs_240_tpt_60_halfLds_sp_op_CI_CI_unitstride_sbrr_dirReg
	.globl	fft_rtc_fwd_len360_factors_10_6_6_wgs_240_tpt_60_halfLds_sp_op_CI_CI_unitstride_sbrr_dirReg
	.p2align	8
	.type	fft_rtc_fwd_len360_factors_10_6_6_wgs_240_tpt_60_halfLds_sp_op_CI_CI_unitstride_sbrr_dirReg,@function
fft_rtc_fwd_len360_factors_10_6_6_wgs_240_tpt_60_halfLds_sp_op_CI_CI_unitstride_sbrr_dirReg: ; @fft_rtc_fwd_len360_factors_10_6_6_wgs_240_tpt_60_halfLds_sp_op_CI_CI_unitstride_sbrr_dirReg
; %bb.0:
	s_load_dwordx4 s[4:7], s[0:1], 0x58
	s_load_dwordx4 s[8:11], s[0:1], 0x0
	;; [unrolled: 1-line block ×3, first 2 shown]
	v_mul_u32_u24_e32 v1, 0x445, v0
	v_lshrrev_b32_e32 v17, 16, v1
	v_lshl_add_u32 v8, s2, 2, v17
	v_mov_b32_e32 v6, 0
	s_waitcnt lgkmcnt(0)
	v_cmp_lt_u64_e64 s[2:3], s[10:11], 2
	v_mov_b32_e32 v9, v6
	s_and_b64 vcc, exec, s[2:3]
	v_mov_b64_e32 v[20:21], 0
	s_cbranch_vccnz .LBB0_8
; %bb.1:
	s_load_dwordx2 s[2:3], s[0:1], 0x10
	s_add_u32 s16, s14, 8
	s_addc_u32 s17, s15, 0
	s_add_u32 s18, s12, 8
	s_addc_u32 s19, s13, 0
	s_waitcnt lgkmcnt(0)
	s_add_u32 s20, s2, 8
	v_mov_b64_e32 v[20:21], 0
	s_addc_u32 s21, s3, 0
	s_mov_b64 s[22:23], 1
	v_mov_b64_e32 v[2:3], v[20:21]
.LBB0_2:                                ; =>This Inner Loop Header: Depth=1
	s_load_dwordx2 s[24:25], s[20:21], 0x0
                                        ; implicit-def: $vgpr4_vgpr5
	s_waitcnt lgkmcnt(0)
	v_or_b32_e32 v7, s25, v9
	v_cmp_ne_u64_e32 vcc, 0, v[6:7]
	s_and_saveexec_b64 s[2:3], vcc
	s_xor_b64 s[26:27], exec, s[2:3]
	s_cbranch_execz .LBB0_4
; %bb.3:                                ;   in Loop: Header=BB0_2 Depth=1
	v_cvt_f32_u32_e32 v1, s24
	v_cvt_f32_u32_e32 v4, s25
	s_sub_u32 s2, 0, s24
	s_subb_u32 s3, 0, s25
	v_fmac_f32_e32 v1, 0x4f800000, v4
	v_rcp_f32_e32 v1, v1
	s_nop 0
	v_mul_f32_e32 v1, 0x5f7ffffc, v1
	v_mul_f32_e32 v4, 0x2f800000, v1
	v_trunc_f32_e32 v4, v4
	v_fmac_f32_e32 v1, 0xcf800000, v4
	v_cvt_u32_f32_e32 v7, v4
	v_cvt_u32_f32_e32 v1, v1
	v_mul_lo_u32 v4, s2, v7
	v_mul_hi_u32 v10, s2, v1
	v_mul_lo_u32 v5, s3, v1
	v_add_u32_e32 v10, v10, v4
	v_mul_lo_u32 v12, s2, v1
	v_add_u32_e32 v13, v10, v5
	v_mul_hi_u32 v4, v1, v12
	v_mul_hi_u32 v11, v1, v13
	v_mul_lo_u32 v10, v1, v13
	v_mov_b32_e32 v5, v6
	v_lshl_add_u64 v[4:5], v[4:5], 0, v[10:11]
	v_mul_hi_u32 v11, v7, v12
	v_mul_lo_u32 v12, v7, v12
	v_add_co_u32_e32 v4, vcc, v4, v12
	v_mul_hi_u32 v10, v7, v13
	s_nop 0
	v_addc_co_u32_e32 v4, vcc, v5, v11, vcc
	v_mov_b32_e32 v5, v6
	s_nop 0
	v_addc_co_u32_e32 v11, vcc, 0, v10, vcc
	v_mul_lo_u32 v10, v7, v13
	v_lshl_add_u64 v[4:5], v[4:5], 0, v[10:11]
	v_add_co_u32_e32 v1, vcc, v1, v4
	v_mul_lo_u32 v10, s2, v1
	s_nop 0
	v_addc_co_u32_e32 v7, vcc, v7, v5, vcc
	v_mul_lo_u32 v4, s2, v7
	v_mul_hi_u32 v5, s2, v1
	v_add_u32_e32 v4, v5, v4
	v_mul_lo_u32 v5, s3, v1
	v_add_u32_e32 v12, v4, v5
	v_mul_hi_u32 v14, v7, v10
	v_mul_lo_u32 v15, v7, v10
	v_mul_hi_u32 v5, v1, v12
	v_mul_lo_u32 v4, v1, v12
	v_mul_hi_u32 v10, v1, v10
	v_mov_b32_e32 v11, v6
	v_lshl_add_u64 v[4:5], v[10:11], 0, v[4:5]
	v_add_co_u32_e32 v4, vcc, v4, v15
	v_mul_hi_u32 v13, v7, v12
	s_nop 0
	v_addc_co_u32_e32 v4, vcc, v5, v14, vcc
	v_mul_lo_u32 v10, v7, v12
	s_nop 0
	v_addc_co_u32_e32 v11, vcc, 0, v13, vcc
	v_mov_b32_e32 v5, v6
	v_lshl_add_u64 v[4:5], v[4:5], 0, v[10:11]
	v_add_co_u32_e32 v1, vcc, v1, v4
	v_mul_hi_u32 v10, v8, v1
	s_nop 0
	v_addc_co_u32_e32 v7, vcc, v7, v5, vcc
	v_mad_u64_u32 v[4:5], s[2:3], v8, v7, 0
	v_mov_b32_e32 v11, v6
	v_lshl_add_u64 v[4:5], v[10:11], 0, v[4:5]
	v_mad_u64_u32 v[12:13], s[2:3], v9, v1, 0
	v_add_co_u32_e32 v1, vcc, v4, v12
	v_mad_u64_u32 v[10:11], s[2:3], v9, v7, 0
	s_nop 0
	v_addc_co_u32_e32 v4, vcc, v5, v13, vcc
	v_mov_b32_e32 v5, v6
	s_nop 0
	v_addc_co_u32_e32 v11, vcc, 0, v11, vcc
	v_lshl_add_u64 v[4:5], v[4:5], 0, v[10:11]
	v_mul_lo_u32 v1, s25, v4
	v_mul_lo_u32 v7, s24, v5
	v_mad_u64_u32 v[10:11], s[2:3], s24, v4, 0
	v_add3_u32 v1, v11, v7, v1
	v_sub_u32_e32 v7, v9, v1
	v_mov_b32_e32 v11, s25
	v_sub_co_u32_e32 v14, vcc, v8, v10
	v_lshl_add_u64 v[12:13], v[4:5], 0, 1
	s_nop 0
	v_subb_co_u32_e64 v7, s[2:3], v7, v11, vcc
	v_subrev_co_u32_e64 v10, s[2:3], s24, v14
	v_subb_co_u32_e32 v1, vcc, v9, v1, vcc
	s_nop 0
	v_subbrev_co_u32_e64 v7, s[2:3], 0, v7, s[2:3]
	v_cmp_le_u32_e64 s[2:3], s25, v7
	v_cmp_le_u32_e32 vcc, s25, v1
	s_nop 0
	v_cndmask_b32_e64 v11, 0, -1, s[2:3]
	v_cmp_le_u32_e64 s[2:3], s24, v10
	s_nop 1
	v_cndmask_b32_e64 v10, 0, -1, s[2:3]
	v_cmp_eq_u32_e64 s[2:3], s25, v7
	s_nop 1
	v_cndmask_b32_e64 v7, v11, v10, s[2:3]
	v_lshl_add_u64 v[10:11], v[4:5], 0, 2
	v_cmp_ne_u32_e64 s[2:3], 0, v7
	s_nop 1
	v_cndmask_b32_e64 v7, v13, v11, s[2:3]
	v_cndmask_b32_e64 v11, 0, -1, vcc
	v_cmp_le_u32_e32 vcc, s24, v14
	s_nop 1
	v_cndmask_b32_e64 v13, 0, -1, vcc
	v_cmp_eq_u32_e32 vcc, s25, v1
	s_nop 1
	v_cndmask_b32_e32 v1, v11, v13, vcc
	v_cmp_ne_u32_e32 vcc, 0, v1
	v_cndmask_b32_e64 v1, v12, v10, s[2:3]
	s_nop 0
	v_cndmask_b32_e32 v5, v5, v7, vcc
	v_cndmask_b32_e32 v4, v4, v1, vcc
.LBB0_4:                                ;   in Loop: Header=BB0_2 Depth=1
	s_andn2_saveexec_b64 s[2:3], s[26:27]
	s_cbranch_execz .LBB0_6
; %bb.5:                                ;   in Loop: Header=BB0_2 Depth=1
	v_cvt_f32_u32_e32 v1, s24
	s_sub_i32 s26, 0, s24
	v_rcp_iflag_f32_e32 v1, v1
	s_nop 0
	v_mul_f32_e32 v1, 0x4f7ffffe, v1
	v_cvt_u32_f32_e32 v1, v1
	v_mul_lo_u32 v4, s26, v1
	v_mul_hi_u32 v4, v1, v4
	v_add_u32_e32 v1, v1, v4
	v_mul_hi_u32 v1, v8, v1
	v_mul_lo_u32 v4, v1, s24
	v_sub_u32_e32 v4, v8, v4
	v_add_u32_e32 v5, 1, v1
	v_subrev_u32_e32 v7, s24, v4
	v_cmp_le_u32_e32 vcc, s24, v4
	s_nop 1
	v_cndmask_b32_e32 v4, v4, v7, vcc
	v_cndmask_b32_e32 v1, v1, v5, vcc
	v_add_u32_e32 v5, 1, v1
	v_cmp_le_u32_e32 vcc, s24, v4
	s_nop 1
	v_cndmask_b32_e32 v4, v1, v5, vcc
	v_mov_b32_e32 v5, v6
.LBB0_6:                                ;   in Loop: Header=BB0_2 Depth=1
	s_or_b64 exec, exec, s[2:3]
	v_mad_u64_u32 v[10:11], s[2:3], v4, s24, 0
	s_load_dwordx2 s[2:3], s[18:19], 0x0
	v_mul_lo_u32 v1, v5, s24
	v_mul_lo_u32 v7, v4, s25
	s_load_dwordx2 s[24:25], s[16:17], 0x0
	s_add_u32 s22, s22, 1
	v_add3_u32 v1, v11, v7, v1
	v_sub_co_u32_e32 v7, vcc, v8, v10
	s_addc_u32 s23, s23, 0
	s_nop 0
	v_subb_co_u32_e32 v1, vcc, v9, v1, vcc
	s_add_u32 s16, s16, 8
	s_waitcnt lgkmcnt(0)
	v_mul_lo_u32 v8, s2, v1
	v_mul_lo_u32 v9, s3, v7
	v_mad_u64_u32 v[20:21], s[2:3], s2, v7, v[20:21]
	s_addc_u32 s17, s17, 0
	v_add3_u32 v21, v9, v21, v8
	v_mul_lo_u32 v1, s24, v1
	v_mul_lo_u32 v8, s25, v7
	v_mad_u64_u32 v[2:3], s[2:3], s24, v7, v[2:3]
	s_add_u32 s18, s18, 8
	v_add3_u32 v3, v8, v3, v1
	s_addc_u32 s19, s19, 0
	v_mov_b64_e32 v[8:9], s[10:11]
	s_add_u32 s20, s20, 8
	v_cmp_ge_u64_e32 vcc, s[22:23], v[8:9]
	s_addc_u32 s21, s21, 0
	s_cbranch_vccnz .LBB0_9
; %bb.7:                                ;   in Loop: Header=BB0_2 Depth=1
	v_mov_b64_e32 v[8:9], v[4:5]
	s_branch .LBB0_2
.LBB0_8:
	v_mov_b64_e32 v[2:3], v[20:21]
	v_mov_b64_e32 v[4:5], v[8:9]
.LBB0_9:
	s_load_dwordx2 s[0:1], s[0:1], 0x28
	s_lshl_b64 s[16:17], s[10:11], 3
	s_add_u32 s2, s14, s16
	s_addc_u32 s3, s15, s17
	s_load_dwordx2 s[2:3], s[2:3], 0x0
	s_waitcnt lgkmcnt(0)
	v_cmp_gt_u64_e32 vcc, s[0:1], v[4:5]
	s_mov_b32 s0, 0x4444445
	v_mul_hi_u32 v1, v0, s0
	v_mul_u32_u24_e32 v1, 60, v1
	v_sub_u32_e32 v0, v0, v1
	v_mov_b32_e32 v6, 0
                                        ; implicit-def: $vgpr16
                                        ; implicit-def: $vgpr9
                                        ; implicit-def: $vgpr38
                                        ; implicit-def: $vgpr19
                                        ; implicit-def: $vgpr22
                                        ; implicit-def: $vgpr24
                                        ; implicit-def: $vgpr12
                                        ; implicit-def: $vgpr10
                                        ; implicit-def: $vgpr14
                                        ; implicit-def: $vgpr30
                                        ; implicit-def: $vgpr28
                                        ; implicit-def: $vgpr26
	s_and_saveexec_b64 s[10:11], vcc
	s_cbranch_execz .LBB0_13
; %bb.10:
	v_cmp_gt_u32_e64 s[0:1], 36, v0
                                        ; implicit-def: $vgpr27
                                        ; implicit-def: $vgpr29
                                        ; implicit-def: $vgpr18
                                        ; implicit-def: $vgpr30
                                        ; implicit-def: $vgpr15
                                        ; implicit-def: $vgpr11
                                        ; implicit-def: $vgpr13
                                        ; implicit-def: $vgpr25
                                        ; implicit-def: $vgpr23
                                        ; implicit-def: $vgpr38
                                        ; implicit-def: $vgpr9
                                        ; implicit-def: $vgpr16
	s_and_saveexec_b64 s[14:15], s[0:1]
	s_cbranch_execz .LBB0_12
; %bb.11:
	s_add_u32 s0, s12, s16
	s_addc_u32 s1, s13, s17
	s_load_dwordx2 s[0:1], s[0:1], 0x0
	v_mov_b32_e32 v1, 0
	s_waitcnt lgkmcnt(0)
	v_mul_lo_u32 v8, s1, v4
	v_mul_lo_u32 v9, s0, v5
	v_mad_u64_u32 v[6:7], s[0:1], s0, v4, 0
	v_add3_u32 v7, v7, v9, v8
	v_lshl_add_u64 v[6:7], v[6:7], 3, s[4:5]
	v_lshl_add_u64 v[6:7], v[20:21], 3, v[6:7]
	v_lshl_add_u64 v[6:7], v[0:1], 3, v[6:7]
	global_load_dwordx2 v[20:21], v[6:7], off offset:2304
	global_load_dwordx2 v[18:19], v[6:7], off
	global_load_dwordx2 v[38:39], v[6:7], off offset:288
	global_load_dwordx2 v[22:23], v[6:7], off offset:576
	;; [unrolled: 1-line block ×8, first 2 shown]
	s_waitcnt vmcnt(9)
	v_mov_b32_e32 v27, v20
	v_mov_b32_e32 v16, v21
	s_waitcnt vmcnt(6)
	v_mov_b32_e32 v26, v22
	s_waitcnt vmcnt(5)
	;; [unrolled: 2-line block ×3, first 2 shown]
	v_mov_b32_e32 v28, v24
	v_mov_b32_e32 v24, v39
	s_waitcnt vmcnt(3)
	v_mov_b32_e32 v22, v31
.LBB0_12:
	s_or_b64 exec, exec, s[14:15]
	v_mov_b32_e32 v6, v0
.LBB0_13:
	s_or_b64 exec, exec, s[10:11]
	v_mov_b32_e32 v31, v22
	s_waitcnt vmcnt(0)
	v_pk_add_f32 v[40:41], v[30:31], v[10:11] neg_lo:[0,1] neg_hi:[0,1]
	v_pk_add_f32 v[32:33], v[12:13], v[14:15]
	v_mov_b32_e32 v39, v24
	s_mov_b32 s12, 0x3f737871
	v_pk_add_f32 v[34:35], v[14:15], v[12:13] neg_lo:[0,1] neg_hi:[0,1]
	v_pk_fma_f32 v[32:33], v[32:33], 0.5, v[38:39] op_sel_hi:[1,0,1] neg_lo:[1,0,0] neg_hi:[1,0,0]
	s_mov_b32 s14, 0x3f167918
	v_pk_add_f32 v[44:45], v[30:31], v[14:15] neg_lo:[0,1] neg_hi:[0,1]
	v_pk_add_f32 v[48:49], v[10:11], v[12:13] neg_lo:[0,1] neg_hi:[0,1]
	v_pk_mul_f32 v[52:53], v[40:41], s[12:13] op_sel_hi:[1,0]
	v_pk_mul_f32 v[46:47], v[34:35], s[14:15] op_sel_hi:[1,0]
	v_pk_add_f32 v[48:49], v[48:49], v[44:45]
	s_mov_b32 s10, 0x3e9e377a
	v_pk_add_f32 v[54:55], v[52:53], v[32:33] op_sel:[1,0] op_sel_hi:[0,1]
	v_pk_add_f32 v[32:33], v[32:33], v[52:53] op_sel:[0,1] op_sel_hi:[1,0] neg_lo:[0,1] neg_hi:[0,1]
	v_pk_mul_f32 v[44:45], v[48:49], s[10:11] op_sel_hi:[1,0]
	v_pk_add_f32 v[54:55], v[46:47], v[54:55] op_sel:[1,0] op_sel_hi:[0,1]
	v_pk_add_f32 v[46:47], v[32:33], v[46:47] op_sel:[0,1] op_sel_hi:[1,0] neg_lo:[0,1] neg_hi:[0,1]
	v_add_f32_e32 v44, v44, v54
	v_mov_b32_e32 v54, v46
	v_pk_fma_f32 v[32:33], v[48:49], s[10:11], v[54:55] op_sel_hi:[1,0,1]
	v_pk_add_f32 v[48:49], v[10:11], v[30:31]
	v_pk_mul_f32 v[52:53], v[34:35], s[12:13] op_sel_hi:[1,0]
	v_pk_fma_f32 v[48:49], v[48:49], 0.5, v[38:39] op_sel_hi:[1,0,1] neg_lo:[1,0,0] neg_hi:[1,0,0]
	v_and_b32_e32 v1, 3, v17
	v_pk_add_f32 v[36:37], v[12:13], v[10:11] neg_lo:[0,1] neg_hi:[0,1]
	v_pk_add_f32 v[34:35], v[52:53], v[48:49] op_sel:[1,0] op_sel_hi:[0,1]
	v_pk_mul_f32 v[40:41], v[40:41], s[14:15] op_sel_hi:[1,0]
	v_pk_add_f32 v[54:55], v[14:15], v[30:31] neg_lo:[0,1] neg_hi:[0,1]
	v_pk_add_f32 v[48:49], v[48:49], v[52:53] op_sel:[0,1] op_sel_hi:[1,0] neg_lo:[0,1] neg_hi:[0,1]
	v_mul_u32_u24_e32 v1, 0x168, v1
	v_add_f32_e32 v20, v23, v19
	v_mov_b32_e32 v50, v25
	v_mov_b32_e32 v51, v45
	v_pk_add_f32 v[34:35], v[34:35], v[40:41] op_sel:[0,1] op_sel_hi:[1,0] neg_lo:[0,1] neg_hi:[0,1]
	v_pk_add_f32 v[36:37], v[36:37], v[54:55]
	v_pk_add_f32 v[40:41], v[40:41], v[48:49] op_sel:[1,0] op_sel_hi:[0,1]
	v_mov_b32_e32 v21, v47
	v_mov_b32_e32 v42, v29
	;; [unrolled: 1-line block ×3, first 2 shown]
	v_pk_fma_f32 v[34:35], v[36:37], s[10:11], v[34:35] op_sel_hi:[1,0,1]
	v_pk_fma_f32 v[36:37], v[36:37], s[10:11], v[40:41] op_sel_hi:[1,0,1]
	v_pk_add_f32 v[40:41], v[50:51], v[20:21]
	v_cmp_gt_u32_e64 s[0:1], 36, v0
	v_lshlrev_b32_e32 v1, 2, v1
	s_and_saveexec_b64 s[4:5], s[0:1]
	s_cbranch_execz .LBB0_15
; %bb.14:
	v_pk_add_f32 v[20:21], v[26:27], v[28:29] neg_lo:[0,1] neg_hi:[0,1]
	s_mov_b32 s16, 0x3f4f1bbd
	s_mov_b32 s17, s14
	v_add_f32_e32 v7, v42, v28
	v_mov_b32_e32 v46, v21
	v_mov_b32_e32 v47, v25
	;; [unrolled: 1-line block ×3, first 2 shown]
	v_pk_mul_f32 v[48:49], v[32:33], s[16:17]
	v_pk_add_f32 v[50:51], v[28:29], v[26:27] neg_lo:[0,1] neg_hi:[0,1]
	v_mul_f32_e32 v39, 0.5, v7
	v_pk_add_f32 v[20:21], v[46:47], v[20:21]
	v_pk_add_f32 v[46:47], v[46:47], v[8:9] neg_lo:[0,1] neg_hi:[0,1]
	v_mov_b32_e32 v8, v49
	v_add_f32_e32 v7, v51, v50
	v_mov_b32_e32 v31, v18
	v_pk_fma_f32 v[48:49], v[32:33], s[16:17], v[8:9] neg_lo:[1,0,0] neg_hi:[1,0,0]
	v_mul_f32_e32 v8, 0x3e9e377a, v7
	v_add_f32_e32 v7, v27, v26
	v_mul_f32_e32 v17, 0.5, v7
	v_pk_add_f32 v[56:57], v[30:31], v[38:39]
	v_pk_add_f32 v[38:39], v[30:31], v[38:39] neg_lo:[0,1] neg_hi:[0,1]
	v_mov_b32_e32 v30, v23
	v_pk_add_f32 v[30:31], v[30:31], v[16:17] neg_lo:[0,1] neg_hi:[0,1]
	v_mul_f32_e32 v51, 0x3f737871, v47
	v_pk_add_f32 v[54:55], v[26:27], v[18:19]
	v_mov_b32_e32 v50, 0x3f167918
	v_pk_mul_f32 v[60:61], v[30:31], s[14:15]
	v_mov_b32_e32 v21, v47
	s_mov_b32 s11, s14
	v_pk_add_f32 v[54:55], v[28:29], v[54:55]
	v_fmamk_f32 v46, v47, 0xbf737871, v31
	v_mov_b32_e32 v47, v60
	v_pk_add_f32 v[60:61], v[30:31], v[50:51]
	v_pk_mul_f32 v[20:21], v[20:21], s[10:11]
	v_mul_f32_e32 v7, 0x3f4f1bbd, v44
	v_pk_add_f32 v[54:55], v[42:43], v[54:55]
	v_mov_b32_e32 v57, v39
	v_pk_fma_f32 v[50:51], v[30:31], v[50:51], v[46:47]
	v_pk_add_f32 v[46:47], v[60:61], v[46:47] neg_lo:[0,1] neg_hi:[0,1]
	v_fmac_f32_e32 v39, 0xbf737871, v30
	v_mul_f32_e32 v53, 0x3f167918, v41
	v_mov_b32_e32 v52, v27
	v_mov_b32_e32 v55, v7
	v_mul_f32_e32 v31, 0x3f737871, v30
	v_mov_b32_e32 v51, v47
	s_mov_b32 s11, s12
	v_sub_f32_e32 v7, v39, v21
	v_mov_b32_e32 v30, v14
	v_pk_add_f32 v[52:53], v[52:53], v[54:55]
	v_mov_b32_e32 v54, v12
	v_mov_b32_e32 v55, v21
	;; [unrolled: 1-line block ×3, first 2 shown]
	v_pk_add_f32 v[46:47], v[8:9], v[50:51] op_sel_hi:[0,1]
	v_pk_mul_f32 v[50:51], v[34:35], s[10:11]
	v_add_f32_e32 v8, v20, v7
	v_pk_add_f32 v[20:21], v[30:31], v[56:57]
	v_mov_b32_e32 v58, v10
	v_pk_fma_f32 v[60:61], v[36:37], s[10:11], v[50:51] op_sel:[0,0,1] op_sel_hi:[1,1,0]
	v_pk_fma_f32 v[50:51], v[36:37], s[10:11], v[50:51] op_sel:[0,0,1] op_sel_hi:[1,1,0] neg_lo:[0,0,1] neg_hi:[0,0,1]
	v_pk_add_f32 v[20:21], v[54:55], v[20:21]
	v_mul_u32_u24_e32 v18, 40, v0
	v_mov_b32_e32 v61, v51
	v_pk_add_f32 v[20:21], v[58:59], v[20:21]
	v_add3_u32 v18, 0, v18, v1
	v_pk_add_f32 v[62:63], v[46:47], v[60:61]
	v_pk_add_f32 v[30:31], v[20:21], v[52:53]
	ds_write2_b64 v18, v[30:31], v[62:63] offset1:1
	v_pk_add_f32 v[30:31], v[8:9], v[48:49]
	v_pk_add_f32 v[38:39], v[52:53], v[20:21] neg_lo:[0,1] neg_hi:[0,1]
	v_mov_b32_e32 v20, v21
	v_mov_b32_e32 v21, v46
	;; [unrolled: 1-line block ×4, first 2 shown]
	v_pk_add_f32 v[20:21], v[20:21], v[52:53] neg_lo:[0,1] neg_hi:[0,1]
	v_mov_b32_e32 v31, v38
	ds_write2_b64 v18, v[30:31], v[20:21] offset0:2 offset1:3
	v_mov_b32_e32 v20, v47
	v_mov_b32_e32 v21, v8
	;; [unrolled: 1-line block ×4, first 2 shown]
	v_pk_add_f32 v[20:21], v[20:21], v[30:31] neg_lo:[0,1] neg_hi:[0,1]
	ds_write_b64 v18, v[20:21] offset:32
.LBB0_15:
	s_or_b64 exec, exec, s[4:5]
	v_lshlrev_b32_e32 v8, 2, v0
	v_add_u32_e32 v12, 0, v8
	v_add_u32_e32 v38, v12, v1
	s_waitcnt lgkmcnt(0)
	s_barrier
	v_add3_u32 v7, 0, v1, v8
	ds_read2_b32 v[30:31], v38 offset0:60 offset1:120
	ds_read2_b32 v[20:21], v38 offset0:180 offset1:240
	ds_read_b32 v8, v7
	ds_read_b32 v10, v38 offset:1200
	s_waitcnt lgkmcnt(0)
	s_barrier
	s_and_saveexec_b64 s[4:5], s[0:1]
	s_cbranch_execz .LBB0_17
; %bb.16:
	v_add_f32_e32 v14, v9, v25
	v_fma_f32 v39, -0.5, v14, v19
	v_add_f32_e32 v14, v16, v23
	v_mul_f32_e32 v49, 0.5, v14
	v_mov_b32_e32 v18, v26
	v_mov_b32_e32 v48, v27
	v_pk_add_f32 v[28:29], v[28:29], v[42:43] neg_lo:[0,1] neg_hi:[0,1]
	v_pk_add_f32 v[42:43], v[22:23], v[24:25]
	v_pk_add_f32 v[46:47], v[22:23], v[24:25] neg_lo:[0,1] neg_hi:[0,1]
	s_mov_b32 s0, 0x3f167918
	v_mov_b32_e32 v24, v9
	v_mov_b32_e32 v17, v23
	v_pk_add_f32 v[18:19], v[18:19], v[48:49] neg_lo:[0,1] neg_hi:[0,1]
	s_mov_b32 s1, 0x3f737871
	v_pk_add_f32 v[22:23], v[24:25], v[16:17] neg_lo:[0,1] neg_hi:[0,1]
	v_mov_b32_e32 v29, v18
	v_add_f32_e32 v14, v22, v23
	v_pk_mul_f32 v[22:23], v[28:29], s[0:1]
	v_mul_f32_e32 v51, 0x3f737871, v28
	v_sub_f32_e32 v17, v39, v23
	v_sub_f32_e32 v25, v17, v22
	v_add_f32_e32 v17, v23, v39
	v_add_f32_e32 v17, v22, v17
	v_mov_b32_e32 v50, 0x3f167918
	v_pk_mul_f32 v[22:23], v[18:19], s[0:1]
	v_pk_add_f32 v[26:27], v[18:19], v[50:51]
	v_fmamk_f32 v28, v28, 0xbf737871, v19
	v_mov_b32_e32 v29, v22
	v_mov_b32_e32 v43, v47
	v_sub_f32_e32 v47, v16, v9
	v_pk_fma_f32 v[18:19], v[18:19], v[50:51], v[28:29]
	v_pk_add_f32 v[22:23], v[26:27], v[28:29] neg_lo:[0,1] neg_hi:[0,1]
	v_mov_b32_e32 v46, v15
	s_mov_b32 s10, 0xbf737871
	v_mov_b32_e32 v19, v23
	v_pk_add_f32 v[22:23], v[46:47], v[42:43]
	v_mov_b32_e32 v27, 0x3e9e377a
	v_mov_b32_e32 v26, v13
	s_mov_b32 s11, 0x3e9e377a
	v_mul_f32_e32 v14, 0x3e9e377a, v14
	v_pk_add_f32 v[28:29], v[26:27], v[22:23]
	v_pk_mul_f32 v[22:23], v[26:27], v[22:23]
	v_mov_b32_e32 v27, 0x3f4f1bbd
	v_mov_b32_e32 v26, v9
	;; [unrolled: 1-line block ×3, first 2 shown]
	v_add_f32_e32 v22, v23, v17
	v_mov_b32_e32 v24, v11
	s_mov_b32 s13, 0x3f4f1bbd
	v_pk_add_f32 v[14:15], v[14:15], v[18:19] op_sel_hi:[0,1]
	v_mul_f32_e32 v17, 0x3f167918, v44
	v_pk_add_f32 v[18:19], v[26:27], v[40:41]
	s_mov_b32 s0, s1
	s_mov_b32 s1, s11
	v_pk_add_f32 v[24:25], v[24:25], v[28:29]
	v_pk_add_f32 v[18:19], v[18:19], v[16:17]
	v_pk_fma_f32 v[16:17], v[40:41], s[12:13], v[16:17] neg_lo:[0,0,1] neg_hi:[0,0,1]
	v_pk_mul_f32 v[28:29], v[36:37], s[0:1]
	v_mul_f32_e32 v9, 0x3f4f1bbd, v33
	s_mov_b32 s0, 0xbf167918
	v_mov_b32_e32 v19, v17
	v_pk_fma_f32 v[28:29], v[34:35], s[10:11], v[28:29] op_sel:[0,0,1] op_sel_hi:[1,1,0] neg_lo:[0,0,1] neg_hi:[0,0,1]
	v_fma_f32 v32, v32, s0, -v9
	v_mov_b32_e32 v23, v18
	v_mov_b32_e32 v33, v24
	v_pk_add_f32 v[26:27], v[24:25], v[18:19]
	v_pk_add_f32 v[34:35], v[14:15], v[28:29]
	;; [unrolled: 1-line block ×3, first 2 shown]
	v_pk_add_f32 v[36:37], v[22:23], v[32:33] neg_lo:[0,1] neg_hi:[0,1]
	v_mov_b32_e32 v24, v25
	v_mov_b32_e32 v25, v15
	;; [unrolled: 1-line block ×4, first 2 shown]
	v_mul_u32_u24_e32 v9, 36, v0
	v_pk_add_f32 v[16:17], v[24:25], v[16:17] neg_lo:[0,1] neg_hi:[0,1]
	v_mov_b32_e32 v15, v22
	v_mov_b32_e32 v29, v32
	v_add3_u32 v9, v12, v9, v1
	v_mov_b32_e32 v12, v35
	v_mov_b32_e32 v13, v34
	;; [unrolled: 1-line block ×3, first 2 shown]
	v_pk_add_f32 v[14:15], v[14:15], v[28:29] neg_lo:[0,1] neg_hi:[0,1]
	ds_write2_b64 v9, v[26:27], v[12:13] offset1:1
	ds_write2_b64 v9, v[18:19], v[16:17] offset0:2 offset1:3
	ds_write_b64 v9, v[14:15] offset:32
.LBB0_17:
	s_or_b64 exec, exec, s[4:5]
	s_movk_i32 s0, 0xcd
	v_mul_lo_u16_sdwa v9, v0, s0 dst_sel:DWORD dst_unused:UNUSED_PAD src0_sel:BYTE_0 src1_sel:DWORD
	v_lshrrev_b16_e32 v9, 11, v9
	v_mul_lo_u16_e32 v11, 10, v9
	v_sub_u16_e32 v11, v0, v11
	v_mov_b32_e32 v12, 5
	v_mul_u32_u24_sdwa v12, v11, v12 dst_sel:DWORD dst_unused:UNUSED_PAD src0_sel:BYTE_0 src1_sel:DWORD
	v_lshlrev_b32_e32 v24, 3, v12
	s_waitcnt lgkmcnt(0)
	s_barrier
	global_load_dwordx4 v[12:15], v24, s[8:9]
	global_load_dwordx4 v[16:19], v24, s[8:9] offset:16
	global_load_dwordx2 v[22:23], v24, s[8:9] offset:32
	ds_read2_b32 v[24:25], v38 offset0:60 offset1:120
	ds_read2_b32 v[26:27], v38 offset0:180 offset1:240
	ds_read_b32 v28, v7
	ds_read_b32 v29, v38 offset:1200
	v_mov_b32_e32 v32, 2
	v_lshlrev_b32_sdwa v11, v32, v11 dst_sel:DWORD dst_unused:UNUSED_PAD src0_sel:DWORD src1_sel:BYTE_0
	s_movk_i32 s4, 0xf0
	v_mad_u32_u24 v9, v9, s4, 0
	v_add3_u32 v1, v9, v11, v1
	s_waitcnt lgkmcnt(0)
	s_barrier
	s_mov_b32 s0, 0x3f5db3d7
	s_mov_b32 s1, 0xbf5db3d7
	s_waitcnt vmcnt(2)
	v_mul_f32_e32 v32, v24, v13
	v_mul_f32_e32 v13, v30, v13
	v_mul_f32_e32 v33, v25, v15
	v_mul_f32_e32 v15, v31, v15
	s_waitcnt vmcnt(1)
	v_mul_f32_e32 v34, v26, v17
	v_mul_f32_e32 v17, v20, v17
	;; [unrolled: 1-line block ×4, first 2 shown]
	s_waitcnt vmcnt(0)
	v_mul_f32_e32 v36, v29, v23
	v_mul_f32_e32 v23, v10, v23
	v_fma_f32 v30, v30, v12, -v32
	v_fmac_f32_e32 v13, v24, v12
	v_fma_f32 v12, v31, v14, -v33
	v_fmac_f32_e32 v15, v25, v14
	v_fma_f32 v14, v20, v16, -v34
	v_fmac_f32_e32 v17, v26, v16
	v_fmac_f32_e32 v19, v27, v18
	v_fma_f32 v10, v10, v22, -v36
	v_fmac_f32_e32 v23, v29, v22
	v_fma_f32 v16, v21, v18, -v35
	v_sub_f32_e32 v21, v15, v19
	v_add_f32_e32 v22, v28, v15
	v_add_f32_e32 v15, v15, v19
	v_add_f32_e32 v25, v14, v10
	v_sub_f32_e32 v26, v17, v23
	v_add_f32_e32 v27, v13, v17
	v_add_f32_e32 v17, v17, v23
	;; [unrolled: 1-line block ×4, first 2 shown]
	v_sub_f32_e32 v12, v12, v16
	v_add_f32_e32 v24, v30, v14
	v_sub_f32_e32 v14, v14, v10
	v_fmac_f32_e32 v28, -0.5, v15
	v_fmac_f32_e32 v30, -0.5, v25
	;; [unrolled: 1-line block ×3, first 2 shown]
	v_add_f32_e32 v16, v18, v16
	v_fmac_f32_e32 v8, -0.5, v20
	v_add_f32_e32 v18, v22, v19
	v_add_f32_e32 v10, v24, v10
	;; [unrolled: 1-line block ×3, first 2 shown]
	v_fmamk_f32 v19, v12, 0xbf5db3d7, v28
	v_fmac_f32_e32 v28, 0x3f5db3d7, v12
	v_fmamk_f32 v12, v26, 0x3f5db3d7, v30
	v_fmac_f32_e32 v30, 0xbf5db3d7, v26
	v_fmamk_f32 v20, v14, 0xbf5db3d7, v13
	v_fmamk_f32 v17, v21, 0x3f5db3d7, v8
	v_fmac_f32_e32 v8, 0xbf5db3d7, v21
	v_fmac_f32_e32 v13, 0x3f5db3d7, v14
	v_add_f32_e32 v14, v16, v10
	v_add_f32_e32 v21, v18, v15
	v_sub_f32_e32 v10, v16, v10
	v_sub_f32_e32 v15, v18, v15
	v_mul_f32_e32 v16, 0x3f5db3d7, v20
	v_mul_f32_e32 v18, -0.5, v30
	v_fmac_f32_e32 v16, 0.5, v12
	v_fmac_f32_e32 v18, 0x3f5db3d7, v13
	v_mul_f32_e32 v22, 0xbf5db3d7, v12
	v_mul_f32_e32 v23, -0.5, v13
	v_add_f32_e32 v12, v17, v16
	v_add_f32_e32 v13, v8, v18
	v_sub_f32_e32 v8, v8, v18
	v_sub_f32_e32 v16, v17, v16
	ds_write2_b32 v1, v14, v12 offset1:10
	ds_write2_b32 v1, v13, v10 offset0:20 offset1:30
	ds_write2_b32 v1, v16, v8 offset0:40 offset1:50
	s_waitcnt lgkmcnt(0)
	s_barrier
	ds_read2_b32 v[10:11], v38 offset0:60 offset1:120
	ds_read2_b32 v[12:13], v38 offset0:180 offset1:240
	ds_read_b32 v8, v7
	ds_read_b32 v14, v38 offset:1200
	v_fmac_f32_e32 v22, 0.5, v20
	v_fmac_f32_e32 v23, 0xbf5db3d7, v30
	v_add_f32_e32 v20, v19, v22
	v_add_f32_e32 v24, v28, v23
	v_sub_f32_e32 v17, v19, v22
	v_sub_f32_e32 v18, v28, v23
	s_waitcnt lgkmcnt(0)
	s_barrier
	ds_write2_b32 v1, v21, v20 offset1:10
	ds_write2_b32 v1, v24, v15 offset0:20 offset1:30
	ds_write2_b32 v1, v17, v18 offset0:40 offset1:50
	s_waitcnt lgkmcnt(0)
	s_barrier
	s_and_saveexec_b64 s[4:5], vcc
	s_cbranch_execz .LBB0_19
; %bb.18:
	v_mul_u32_u24_e32 v0, 5, v0
	v_lshlrev_b32_e32 v9, 3, v0
	global_load_dwordx4 v[16:19], v9, s[8:9] offset:400
	global_load_dwordx4 v[20:23], v9, s[8:9] offset:416
	global_load_dwordx2 v[0:1], v9, s[8:9] offset:432
	v_mul_lo_u32 v15, s3, v4
	v_mul_lo_u32 v29, s2, v5
	v_mad_u64_u32 v[4:5], s[2:3], s2, v4, 0
	ds_read2_b32 v[24:25], v38 offset0:60 offset1:120
	ds_read2_b32 v[26:27], v38 offset0:180 offset1:240
	ds_read_b32 v9, v7
	ds_read_b32 v28, v38 offset:1200
	v_add3_u32 v5, v5, v29, v15
	v_lshl_add_u64 v[4:5], v[4:5], 3, s[6:7]
	v_mov_b32_e32 v7, 0
	v_lshl_add_u64 v[2:3], v[2:3], 3, v[4:5]
	v_lshl_add_u64 v[2:3], v[6:7], 3, v[2:3]
	s_waitcnt lgkmcnt(3)
	v_mov_b32_e32 v4, v25
	s_waitcnt lgkmcnt(2)
	v_mov_b32_e32 v6, v27
	v_mov_b32_e32 v30, v11
	;; [unrolled: 1-line block ×5, first 2 shown]
	s_waitcnt vmcnt(2)
	v_pk_mul_f32 v[4:5], v[18:19], v[4:5] op_sel_hi:[1,0]
	s_waitcnt vmcnt(1)
	v_pk_mul_f32 v[6:7], v[22:23], v[6:7] op_sel_hi:[1,0]
	v_pk_mul_f32 v[26:27], v[20:21], v[26:27] op_sel_hi:[1,0]
	s_waitcnt vmcnt(0) lgkmcnt(0)
	v_pk_mul_f32 v[28:29], v[0:1], v[28:29] op_sel_hi:[1,0]
	v_pk_mul_f32 v[24:25], v[16:17], v[24:25] op_sel_hi:[1,0]
	v_pk_fma_f32 v[30:31], v[30:31], v[18:19], v[4:5] op_sel:[0,0,1] op_sel_hi:[1,1,0] neg_lo:[0,0,1] neg_hi:[0,0,1]
	v_pk_fma_f32 v[4:5], v[32:33], v[18:19], v[4:5] op_sel:[0,0,1] op_sel_hi:[0,1,0]
	v_pk_fma_f32 v[18:19], v[34:35], v[22:23], v[6:7] op_sel:[0,0,1] op_sel_hi:[1,1,0] neg_lo:[0,0,1] neg_hi:[0,0,1]
	v_pk_fma_f32 v[6:7], v[36:37], v[22:23], v[6:7] op_sel:[0,0,1] op_sel_hi:[0,1,0]
	;; [unrolled: 2-line block ×5, first 2 shown]
	v_mov_b32_e32 v23, v13
	v_mov_b32_e32 v21, v1
	;; [unrolled: 1-line block ×5, first 2 shown]
	v_pk_add_f32 v[10:11], v[22:23], v[20:21]
	v_pk_add_f32 v[0:1], v[8:9], v[30:31]
	;; [unrolled: 1-line block ×3, first 2 shown]
	v_pk_add_f32 v[6:7], v[22:23], v[20:21] neg_lo:[0,1] neg_hi:[0,1]
	v_pk_add_f32 v[12:13], v[30:31], v[18:19]
	v_pk_add_f32 v[16:17], v[30:31], v[18:19] neg_lo:[0,1] neg_hi:[0,1]
	v_pk_fma_f32 v[10:11], v[10:11], 0.5, v[14:15] op_sel_hi:[1,0,1] neg_lo:[1,0,0] neg_hi:[1,0,0]
	v_pk_add_f32 v[0:1], v[0:1], v[18:19]
	v_pk_add_f32 v[4:5], v[4:5], v[20:21]
	v_pk_fma_f32 v[8:9], v[12:13], 0.5, v[8:9] op_sel_hi:[1,0,1] neg_lo:[1,0,0] neg_hi:[1,0,0]
	v_pk_mul_f32 v[12:13], v[16:17], s[0:1] op_sel_hi:[1,0]
	v_pk_fma_f32 v[16:17], v[6:7], s[0:1], v[10:11] op_sel:[0,0,1] op_sel_hi:[1,0,0]
	v_pk_fma_f32 v[6:7], v[6:7], s[0:1], v[10:11] op_sel:[0,0,1] op_sel_hi:[1,0,0] neg_lo:[1,0,0] neg_hi:[1,0,0]
	v_pk_add_f32 v[14:15], v[0:1], v[4:5]
	v_pk_add_f32 v[10:11], v[8:9], v[12:13] op_sel:[0,1] op_sel_hi:[1,0] neg_lo:[0,1] neg_hi:[0,1]
	v_pk_add_f32 v[8:9], v[8:9], v[12:13] op_sel:[0,1] op_sel_hi:[1,0]
	v_pk_add_f32 v[0:1], v[0:1], v[4:5] neg_lo:[0,1] neg_hi:[0,1]
	v_mov_b32_e32 v4, v16
	v_mov_b32_e32 v5, v7
	;; [unrolled: 1-line block ×3, first 2 shown]
	v_mul_f32_e32 v7, 0xbf5db3d7, v17
	v_mul_f32_e32 v9, 0x3f5db3d7, v6
	global_store_dwordx2 v[2:3], v[0:1], off offset:1440
	v_pk_mul_f32 v[0:1], v[4:5], 0.5 op_sel_hi:[1,0]
	v_mov_b32_e32 v12, v10
	v_fmac_f32_e32 v7, 0.5, v6
	v_fmac_f32_e32 v9, 0.5, v17
	v_pk_fma_f32 v[0:1], v[4:5], s[0:1], v[0:1] op_sel:[0,0,1] op_sel_hi:[1,1,0] neg_lo:[0,0,1] neg_hi:[0,0,1]
	v_sub_f32_e32 v5, v11, v7
	v_sub_f32_e32 v4, v8, v9
	v_add_f32_e32 v7, v11, v7
	v_add_f32_e32 v6, v8, v9
	v_pk_add_f32 v[8:9], v[12:13], v[0:1]
	global_store_dwordx2 v[2:3], v[14:15], off
	global_store_dwordx2 v[2:3], v[6:7], off offset:480
	global_store_dwordx2 v[2:3], v[4:5], off offset:1920
	v_pk_add_f32 v[0:1], v[12:13], v[0:1] neg_lo:[0,1] neg_hi:[0,1]
	global_store_dwordx2 v[2:3], v[8:9], off offset:960
	global_store_dwordx2 v[2:3], v[0:1], off offset:2400
.LBB0_19:
	s_endpgm
	.section	.rodata,"a",@progbits
	.p2align	6, 0x0
	.amdhsa_kernel fft_rtc_fwd_len360_factors_10_6_6_wgs_240_tpt_60_halfLds_sp_op_CI_CI_unitstride_sbrr_dirReg
		.amdhsa_group_segment_fixed_size 0
		.amdhsa_private_segment_fixed_size 0
		.amdhsa_kernarg_size 104
		.amdhsa_user_sgpr_count 2
		.amdhsa_user_sgpr_dispatch_ptr 0
		.amdhsa_user_sgpr_queue_ptr 0
		.amdhsa_user_sgpr_kernarg_segment_ptr 1
		.amdhsa_user_sgpr_dispatch_id 0
		.amdhsa_user_sgpr_kernarg_preload_length 0
		.amdhsa_user_sgpr_kernarg_preload_offset 0
		.amdhsa_user_sgpr_private_segment_size 0
		.amdhsa_uses_dynamic_stack 0
		.amdhsa_enable_private_segment 0
		.amdhsa_system_sgpr_workgroup_id_x 1
		.amdhsa_system_sgpr_workgroup_id_y 0
		.amdhsa_system_sgpr_workgroup_id_z 0
		.amdhsa_system_sgpr_workgroup_info 0
		.amdhsa_system_vgpr_workitem_id 0
		.amdhsa_next_free_vgpr 64
		.amdhsa_next_free_sgpr 28
		.amdhsa_accum_offset 64
		.amdhsa_reserve_vcc 1
		.amdhsa_float_round_mode_32 0
		.amdhsa_float_round_mode_16_64 0
		.amdhsa_float_denorm_mode_32 3
		.amdhsa_float_denorm_mode_16_64 3
		.amdhsa_dx10_clamp 1
		.amdhsa_ieee_mode 1
		.amdhsa_fp16_overflow 0
		.amdhsa_tg_split 0
		.amdhsa_exception_fp_ieee_invalid_op 0
		.amdhsa_exception_fp_denorm_src 0
		.amdhsa_exception_fp_ieee_div_zero 0
		.amdhsa_exception_fp_ieee_overflow 0
		.amdhsa_exception_fp_ieee_underflow 0
		.amdhsa_exception_fp_ieee_inexact 0
		.amdhsa_exception_int_div_zero 0
	.end_amdhsa_kernel
	.text
.Lfunc_end0:
	.size	fft_rtc_fwd_len360_factors_10_6_6_wgs_240_tpt_60_halfLds_sp_op_CI_CI_unitstride_sbrr_dirReg, .Lfunc_end0-fft_rtc_fwd_len360_factors_10_6_6_wgs_240_tpt_60_halfLds_sp_op_CI_CI_unitstride_sbrr_dirReg
                                        ; -- End function
	.section	.AMDGPU.csdata,"",@progbits
; Kernel info:
; codeLenInByte = 4112
; NumSgprs: 34
; NumVgprs: 64
; NumAgprs: 0
; TotalNumVgprs: 64
; ScratchSize: 0
; MemoryBound: 0
; FloatMode: 240
; IeeeMode: 1
; LDSByteSize: 0 bytes/workgroup (compile time only)
; SGPRBlocks: 4
; VGPRBlocks: 7
; NumSGPRsForWavesPerEU: 34
; NumVGPRsForWavesPerEU: 64
; AccumOffset: 64
; Occupancy: 8
; WaveLimiterHint : 1
; COMPUTE_PGM_RSRC2:SCRATCH_EN: 0
; COMPUTE_PGM_RSRC2:USER_SGPR: 2
; COMPUTE_PGM_RSRC2:TRAP_HANDLER: 0
; COMPUTE_PGM_RSRC2:TGID_X_EN: 1
; COMPUTE_PGM_RSRC2:TGID_Y_EN: 0
; COMPUTE_PGM_RSRC2:TGID_Z_EN: 0
; COMPUTE_PGM_RSRC2:TIDIG_COMP_CNT: 0
; COMPUTE_PGM_RSRC3_GFX90A:ACCUM_OFFSET: 15
; COMPUTE_PGM_RSRC3_GFX90A:TG_SPLIT: 0
	.text
	.p2alignl 6, 3212836864
	.fill 256, 4, 3212836864
	.type	__hip_cuid_85111b0157bd4292,@object ; @__hip_cuid_85111b0157bd4292
	.section	.bss,"aw",@nobits
	.globl	__hip_cuid_85111b0157bd4292
__hip_cuid_85111b0157bd4292:
	.byte	0                               ; 0x0
	.size	__hip_cuid_85111b0157bd4292, 1

	.ident	"AMD clang version 19.0.0git (https://github.com/RadeonOpenCompute/llvm-project roc-6.4.0 25133 c7fe45cf4b819c5991fe208aaa96edf142730f1d)"
	.section	".note.GNU-stack","",@progbits
	.addrsig
	.addrsig_sym __hip_cuid_85111b0157bd4292
	.amdgpu_metadata
---
amdhsa.kernels:
  - .agpr_count:     0
    .args:
      - .actual_access:  read_only
        .address_space:  global
        .offset:         0
        .size:           8
        .value_kind:     global_buffer
      - .offset:         8
        .size:           8
        .value_kind:     by_value
      - .actual_access:  read_only
        .address_space:  global
        .offset:         16
        .size:           8
        .value_kind:     global_buffer
      - .actual_access:  read_only
        .address_space:  global
        .offset:         24
        .size:           8
        .value_kind:     global_buffer
      - .actual_access:  read_only
        .address_space:  global
        .offset:         32
        .size:           8
        .value_kind:     global_buffer
      - .offset:         40
        .size:           8
        .value_kind:     by_value
      - .actual_access:  read_only
        .address_space:  global
        .offset:         48
        .size:           8
        .value_kind:     global_buffer
      - .actual_access:  read_only
        .address_space:  global
        .offset:         56
        .size:           8
        .value_kind:     global_buffer
      - .offset:         64
        .size:           4
        .value_kind:     by_value
      - .actual_access:  read_only
        .address_space:  global
        .offset:         72
        .size:           8
        .value_kind:     global_buffer
      - .actual_access:  read_only
        .address_space:  global
        .offset:         80
        .size:           8
        .value_kind:     global_buffer
      - .actual_access:  read_only
        .address_space:  global
        .offset:         88
        .size:           8
        .value_kind:     global_buffer
      - .actual_access:  write_only
        .address_space:  global
        .offset:         96
        .size:           8
        .value_kind:     global_buffer
    .group_segment_fixed_size: 0
    .kernarg_segment_align: 8
    .kernarg_segment_size: 104
    .language:       OpenCL C
    .language_version:
      - 2
      - 0
    .max_flat_workgroup_size: 240
    .name:           fft_rtc_fwd_len360_factors_10_6_6_wgs_240_tpt_60_halfLds_sp_op_CI_CI_unitstride_sbrr_dirReg
    .private_segment_fixed_size: 0
    .sgpr_count:     34
    .sgpr_spill_count: 0
    .symbol:         fft_rtc_fwd_len360_factors_10_6_6_wgs_240_tpt_60_halfLds_sp_op_CI_CI_unitstride_sbrr_dirReg.kd
    .uniform_work_group_size: 1
    .uses_dynamic_stack: false
    .vgpr_count:     64
    .vgpr_spill_count: 0
    .wavefront_size: 64
amdhsa.target:   amdgcn-amd-amdhsa--gfx950
amdhsa.version:
  - 1
  - 2
...

	.end_amdgpu_metadata
